;; amdgpu-corpus repo=ROCm/rocFFT kind=compiled arch=gfx1100 opt=O3
	.text
	.amdgcn_target "amdgcn-amd-amdhsa--gfx1100"
	.amdhsa_code_object_version 6
	.protected	fft_rtc_back_len104_factors_13_8_wgs_208_tpt_13_dp_ip_CI_sbcc_twdbase6_3step_dirReg_intrinsicRead ; -- Begin function fft_rtc_back_len104_factors_13_8_wgs_208_tpt_13_dp_ip_CI_sbcc_twdbase6_3step_dirReg_intrinsicRead
	.globl	fft_rtc_back_len104_factors_13_8_wgs_208_tpt_13_dp_ip_CI_sbcc_twdbase6_3step_dirReg_intrinsicRead
	.p2align	8
	.type	fft_rtc_back_len104_factors_13_8_wgs_208_tpt_13_dp_ip_CI_sbcc_twdbase6_3step_dirReg_intrinsicRead,@function
fft_rtc_back_len104_factors_13_8_wgs_208_tpt_13_dp_ip_CI_sbcc_twdbase6_3step_dirReg_intrinsicRead: ; @fft_rtc_back_len104_factors_13_8_wgs_208_tpt_13_dp_ip_CI_sbcc_twdbase6_3step_dirReg_intrinsicRead
; %bb.0:
	s_load_b256 s[4:11], s[0:1], 0x8
	s_mov_b32 s18, s15
	s_mov_b32 s2, exec_lo
	v_cmpx_gt_u32_e32 0xc0, v0
	s_cbranch_execz .LBB0_2
; %bb.1:
	v_lshlrev_b32_e32 v5, 4, v0
	s_waitcnt lgkmcnt(0)
	global_load_b128 v[1:4], v5, s[4:5]
	v_add3_u32 v5, 0, v5, 0x6800
	s_waitcnt vmcnt(0)
	ds_store_2addr_b64 v5, v[1:2], v[3:4] offset1:1
.LBB0_2:
	s_or_b32 exec_lo, exec_lo, s2
	s_waitcnt lgkmcnt(0)
	s_load_b64 s[16:17], s[8:9], 0x8
	s_mov_b32 s19, 0
	s_mov_b64 s[24:25], 0
	s_waitcnt lgkmcnt(0)
	s_add_u32 s2, s16, -1
	s_addc_u32 s3, s17, -1
	s_delay_alu instid0(SALU_CYCLE_1) | instskip(NEXT) | instid1(SALU_CYCLE_1)
	s_lshr_b64 s[2:3], s[2:3], 4
	s_add_u32 s20, s2, 1
	s_addc_u32 s21, s3, 0
	s_delay_alu instid0(SALU_CYCLE_1) | instskip(NEXT) | instid1(VALU_DEP_1)
	v_cmp_lt_u64_e64 s2, s[18:19], s[20:21]
	s_and_b32 vcc_lo, exec_lo, s2
	s_cbranch_vccnz .LBB0_4
; %bb.3:
	v_cvt_f32_u32_e32 v1, s20
	s_sub_i32 s3, 0, s20
	s_mov_b32 s25, s19
	s_delay_alu instid0(VALU_DEP_1) | instskip(SKIP_2) | instid1(VALU_DEP_1)
	v_rcp_iflag_f32_e32 v1, v1
	s_waitcnt_depctr 0xfff
	v_mul_f32_e32 v1, 0x4f7ffffe, v1
	v_cvt_u32_f32_e32 v1, v1
	s_delay_alu instid0(VALU_DEP_1) | instskip(NEXT) | instid1(VALU_DEP_1)
	v_readfirstlane_b32 s2, v1
	s_mul_i32 s3, s3, s2
	s_delay_alu instid0(SALU_CYCLE_1) | instskip(NEXT) | instid1(SALU_CYCLE_1)
	s_mul_hi_u32 s3, s2, s3
	s_add_i32 s2, s2, s3
	s_delay_alu instid0(SALU_CYCLE_1) | instskip(NEXT) | instid1(SALU_CYCLE_1)
	s_mul_hi_u32 s2, s18, s2
	s_mul_i32 s3, s2, s20
	s_add_i32 s4, s2, 1
	s_sub_i32 s3, s18, s3
	s_delay_alu instid0(SALU_CYCLE_1)
	s_sub_i32 s5, s3, s20
	s_cmp_ge_u32 s3, s20
	s_cselect_b32 s2, s4, s2
	s_cselect_b32 s3, s5, s3
	s_add_i32 s4, s2, 1
	s_cmp_ge_u32 s3, s20
	s_cselect_b32 s24, s4, s2
.LBB0_4:
	s_load_b128 s[12:15], s[10:11], 0x0
	s_mul_i32 s2, s24, s21
	s_mul_hi_u32 s3, s24, s20
	s_mul_i32 s4, s24, s20
	s_add_i32 s3, s3, s2
	s_sub_u32 s22, s18, s4
	s_subb_u32 s23, 0, s3
	s_clause 0x1
	s_load_b64 s[2:3], s[0:1], 0x58
	s_load_b64 s[4:5], s[0:1], 0x0
	v_alignbit_b32 v1, s23, s22, 28
	s_lshl_b64 s[22:23], s[22:23], 4
	v_cmp_lt_u64_e64 s1, s[6:7], 3
	s_delay_alu instid0(VALU_DEP_1) | instskip(SKIP_4) | instid1(VALU_DEP_1)
	s_and_b32 vcc_lo, exec_lo, s1
	s_waitcnt lgkmcnt(0)
	v_mul_lo_u32 v1, s14, v1
	s_mul_hi_u32 s0, s14, s22
	s_mul_i32 s26, s15, s22
	v_add_nc_u32_e32 v2, s0, v1
	s_mul_i32 s0, s14, s22
	s_delay_alu instid0(VALU_DEP_1) | instid1(SALU_CYCLE_1)
	v_dual_mov_b32 v1, s0 :: v_dual_add_nc_u32 v2, s26, v2
	s_cbranch_vccnz .LBB0_13
; %bb.5:
	s_add_u32 s0, s10, 16
	s_addc_u32 s1, s11, 0
	s_add_u32 s8, s8, 16
	s_addc_u32 s9, s9, 0
	s_mov_b64 s[26:27], 2
	s_mov_b32 s28, 0
	s_branch .LBB0_7
.LBB0_6:                                ;   in Loop: Header=BB0_7 Depth=1
	s_load_b64 s[36:37], s[0:1], 0x0
	s_mul_i32 s21, s30, s21
	s_mul_hi_u32 s29, s30, s20
	s_mul_i32 s33, s31, s20
	s_mul_i32 s31, s34, s31
	s_mul_hi_u32 s38, s34, s30
	s_mul_i32 s39, s35, s30
	s_add_i32 s21, s29, s21
	s_add_i32 s29, s38, s31
	s_mul_i32 s40, s34, s30
	s_add_i32 s21, s21, s33
	s_add_i32 s29, s29, s39
	s_sub_u32 s24, s24, s40
	s_subb_u32 s25, s25, s29
	s_mul_i32 s20, s30, s20
	s_waitcnt lgkmcnt(0)
	s_mul_i32 s25, s36, s25
	s_mul_hi_u32 s29, s36, s24
	s_mul_i32 s31, s37, s24
	s_add_i32 s25, s29, s25
	s_mul_i32 s24, s36, s24
	s_add_i32 s25, s25, s31
	s_add_u32 s26, s26, 1
	s_addc_u32 s27, s27, 0
	v_add_co_u32 v1, vcc_lo, s24, v1
	v_cmp_ge_u64_e64 s29, s[26:27], s[6:7]
	v_add_co_ci_u32_e32 v2, vcc_lo, s25, v2, vcc_lo
	s_add_u32 s0, s0, 8
	s_addc_u32 s1, s1, 0
	s_add_u32 s8, s8, 8
	s_addc_u32 s9, s9, 0
	s_and_b32 vcc_lo, exec_lo, s29
	s_mov_b64 s[24:25], s[34:35]
	s_cbranch_vccnz .LBB0_11
.LBB0_7:                                ; =>This Inner Loop Header: Depth=1
	s_load_b64 s[30:31], s[8:9], 0x0
	s_waitcnt lgkmcnt(0)
	s_or_b64 s[34:35], s[24:25], s[30:31]
	s_delay_alu instid0(SALU_CYCLE_1) | instskip(NEXT) | instid1(SALU_CYCLE_1)
	s_mov_b32 s29, s35
                                        ; implicit-def: $sgpr34_sgpr35
	s_cmp_lg_u64 s[28:29], 0
	s_mov_b32 s29, -1
	s_cbranch_scc0 .LBB0_9
; %bb.8:                                ;   in Loop: Header=BB0_7 Depth=1
	v_cvt_f32_u32_e32 v3, s30
	v_cvt_f32_u32_e32 v4, s31
	s_sub_u32 s34, 0, s30
	s_subb_u32 s35, 0, s31
	s_delay_alu instid0(VALU_DEP_1) | instskip(NEXT) | instid1(VALU_DEP_1)
	v_fmac_f32_e32 v3, 0x4f800000, v4
	v_rcp_f32_e32 v3, v3
	s_waitcnt_depctr 0xfff
	v_mul_f32_e32 v3, 0x5f7ffffc, v3
	s_delay_alu instid0(VALU_DEP_1) | instskip(NEXT) | instid1(VALU_DEP_1)
	v_mul_f32_e32 v4, 0x2f800000, v3
	v_trunc_f32_e32 v4, v4
	s_delay_alu instid0(VALU_DEP_1) | instskip(SKIP_1) | instid1(VALU_DEP_2)
	v_fmac_f32_e32 v3, 0xcf800000, v4
	v_cvt_u32_f32_e32 v4, v4
	v_cvt_u32_f32_e32 v3, v3
	s_delay_alu instid0(VALU_DEP_2) | instskip(NEXT) | instid1(VALU_DEP_2)
	v_readfirstlane_b32 s29, v4
	v_readfirstlane_b32 s33, v3
	s_delay_alu instid0(VALU_DEP_2) | instskip(NEXT) | instid1(VALU_DEP_1)
	s_mul_i32 s36, s34, s29
	s_mul_hi_u32 s38, s34, s33
	s_mul_i32 s37, s35, s33
	s_add_i32 s36, s38, s36
	s_mul_i32 s39, s34, s33
	s_add_i32 s36, s36, s37
	s_mul_hi_u32 s38, s33, s39
	s_mul_hi_u32 s40, s29, s39
	s_mul_i32 s37, s29, s39
	s_mul_hi_u32 s39, s33, s36
	s_mul_i32 s33, s33, s36
	s_mul_hi_u32 s41, s29, s36
	s_add_u32 s33, s38, s33
	s_addc_u32 s38, 0, s39
	s_add_u32 s33, s33, s37
	s_mul_i32 s36, s29, s36
	s_addc_u32 s33, s38, s40
	s_addc_u32 s37, s41, 0
	s_add_u32 s33, s33, s36
	s_addc_u32 s36, 0, s37
	v_add_co_u32 v3, s33, v3, s33
	s_delay_alu instid0(VALU_DEP_1) | instskip(SKIP_1) | instid1(VALU_DEP_1)
	s_cmp_lg_u32 s33, 0
	s_addc_u32 s29, s29, s36
	v_readfirstlane_b32 s33, v3
	s_mul_i32 s36, s34, s29
	s_delay_alu instid0(VALU_DEP_1)
	s_mul_hi_u32 s37, s34, s33
	s_mul_i32 s35, s35, s33
	s_add_i32 s36, s37, s36
	s_mul_i32 s34, s34, s33
	s_add_i32 s36, s36, s35
	s_mul_hi_u32 s37, s29, s34
	s_mul_i32 s38, s29, s34
	s_mul_hi_u32 s34, s33, s34
	s_mul_hi_u32 s39, s33, s36
	s_mul_i32 s33, s33, s36
	s_mul_hi_u32 s35, s29, s36
	s_add_u32 s33, s34, s33
	s_addc_u32 s34, 0, s39
	s_add_u32 s33, s33, s38
	s_mul_i32 s36, s29, s36
	s_addc_u32 s33, s34, s37
	s_addc_u32 s34, s35, 0
	s_add_u32 s33, s33, s36
	s_addc_u32 s34, 0, s34
	v_add_co_u32 v3, s33, v3, s33
	s_delay_alu instid0(VALU_DEP_1) | instskip(SKIP_1) | instid1(VALU_DEP_1)
	s_cmp_lg_u32 s33, 0
	s_addc_u32 s29, s29, s34
	v_readfirstlane_b32 s33, v3
	s_mul_i32 s35, s24, s29
	s_mul_hi_u32 s34, s24, s29
	s_mul_hi_u32 s36, s25, s29
	s_mul_i32 s29, s25, s29
	s_mul_hi_u32 s37, s24, s33
	s_mul_hi_u32 s38, s25, s33
	s_mul_i32 s33, s25, s33
	s_add_u32 s35, s37, s35
	s_addc_u32 s34, 0, s34
	s_add_u32 s33, s35, s33
	s_addc_u32 s33, s34, s38
	s_addc_u32 s34, s36, 0
	s_add_u32 s33, s33, s29
	s_addc_u32 s34, 0, s34
	s_mul_hi_u32 s29, s30, s33
	s_mul_i32 s36, s30, s34
	s_mul_i32 s37, s30, s33
	s_add_i32 s29, s29, s36
	v_sub_co_u32 v3, s36, s24, s37
	s_mul_i32 s35, s31, s33
	s_delay_alu instid0(SALU_CYCLE_1) | instskip(NEXT) | instid1(VALU_DEP_1)
	s_add_i32 s29, s29, s35
	v_sub_co_u32 v4, s37, v3, s30
	s_sub_i32 s35, s25, s29
	s_cmp_lg_u32 s36, 0
	s_subb_u32 s35, s35, s31
	s_cmp_lg_u32 s37, 0
	v_readfirstlane_b32 s37, v4
	s_subb_u32 s35, s35, 0
	s_delay_alu instid0(SALU_CYCLE_1) | instskip(SKIP_1) | instid1(VALU_DEP_1)
	s_cmp_ge_u32 s35, s31
	s_cselect_b32 s38, -1, 0
	s_cmp_ge_u32 s37, s30
	s_cselect_b32 s37, -1, 0
	s_cmp_eq_u32 s35, s31
	s_cselect_b32 s35, s37, s38
	s_add_u32 s37, s33, 1
	s_addc_u32 s38, s34, 0
	s_add_u32 s39, s33, 2
	s_addc_u32 s40, s34, 0
	s_cmp_lg_u32 s35, 0
	s_cselect_b32 s37, s39, s37
	s_cselect_b32 s35, s40, s38
	s_cmp_lg_u32 s36, 0
	v_readfirstlane_b32 s36, v3
	s_subb_u32 s29, s25, s29
	s_delay_alu instid0(SALU_CYCLE_1) | instskip(SKIP_1) | instid1(VALU_DEP_1)
	s_cmp_ge_u32 s29, s31
	s_cselect_b32 s38, -1, 0
	s_cmp_ge_u32 s36, s30
	s_cselect_b32 s36, -1, 0
	s_cmp_eq_u32 s29, s31
	s_cselect_b32 s29, s36, s38
	s_delay_alu instid0(SALU_CYCLE_1)
	s_cmp_lg_u32 s29, 0
	s_mov_b32 s29, 0
	s_cselect_b32 s35, s35, s34
	s_cselect_b32 s34, s37, s33
.LBB0_9:                                ;   in Loop: Header=BB0_7 Depth=1
	s_and_not1_b32 vcc_lo, exec_lo, s29
	s_cbranch_vccnz .LBB0_6
; %bb.10:                               ;   in Loop: Header=BB0_7 Depth=1
	v_cvt_f32_u32_e32 v3, s30
	s_sub_i32 s33, 0, s30
	s_delay_alu instid0(VALU_DEP_1) | instskip(SKIP_2) | instid1(VALU_DEP_1)
	v_rcp_iflag_f32_e32 v3, v3
	s_waitcnt_depctr 0xfff
	v_mul_f32_e32 v3, 0x4f7ffffe, v3
	v_cvt_u32_f32_e32 v3, v3
	s_delay_alu instid0(VALU_DEP_1) | instskip(NEXT) | instid1(VALU_DEP_1)
	v_readfirstlane_b32 s29, v3
	s_mul_i32 s33, s33, s29
	s_delay_alu instid0(SALU_CYCLE_1) | instskip(NEXT) | instid1(SALU_CYCLE_1)
	s_mul_hi_u32 s33, s29, s33
	s_add_i32 s29, s29, s33
	s_delay_alu instid0(SALU_CYCLE_1) | instskip(NEXT) | instid1(SALU_CYCLE_1)
	s_mul_hi_u32 s29, s24, s29
	s_mul_i32 s33, s29, s30
	s_add_i32 s34, s29, 1
	s_sub_i32 s33, s24, s33
	s_delay_alu instid0(SALU_CYCLE_1)
	s_sub_i32 s35, s33, s30
	s_cmp_ge_u32 s33, s30
	s_cselect_b32 s29, s34, s29
	s_cselect_b32 s33, s35, s33
	s_add_i32 s34, s29, 1
	s_cmp_ge_u32 s33, s30
	s_mov_b32 s35, s28
	s_cselect_b32 s34, s34, s29
	s_branch .LBB0_6
.LBB0_11:
	v_cmp_lt_u64_e64 s0, s[18:19], s[20:21]
	s_mov_b64 s[24:25], 0
	s_delay_alu instid0(VALU_DEP_1)
	s_and_b32 vcc_lo, exec_lo, s0
	s_cbranch_vccnz .LBB0_13
; %bb.12:
	v_cvt_f32_u32_e32 v3, s20
	s_sub_i32 s1, 0, s20
	s_delay_alu instid0(VALU_DEP_1) | instskip(SKIP_2) | instid1(VALU_DEP_1)
	v_rcp_iflag_f32_e32 v3, v3
	s_waitcnt_depctr 0xfff
	v_mul_f32_e32 v3, 0x4f7ffffe, v3
	v_cvt_u32_f32_e32 v3, v3
	s_delay_alu instid0(VALU_DEP_1) | instskip(NEXT) | instid1(VALU_DEP_1)
	v_readfirstlane_b32 s0, v3
	s_mul_i32 s1, s1, s0
	s_delay_alu instid0(SALU_CYCLE_1) | instskip(NEXT) | instid1(SALU_CYCLE_1)
	s_mul_hi_u32 s1, s0, s1
	s_add_i32 s0, s0, s1
	s_delay_alu instid0(SALU_CYCLE_1) | instskip(NEXT) | instid1(SALU_CYCLE_1)
	s_mul_hi_u32 s0, s18, s0
	s_mul_i32 s1, s0, s20
	s_add_i32 s8, s0, 1
	s_sub_i32 s1, s18, s1
	s_delay_alu instid0(SALU_CYCLE_1)
	s_sub_i32 s9, s1, s20
	s_cmp_ge_u32 s1, s20
	s_cselect_b32 s0, s8, s0
	s_cselect_b32 s1, s9, s1
	s_add_i32 s8, s0, 1
	s_cmp_ge_u32 s1, s20
	s_cselect_b32 s24, s8, s0
.LBB0_13:
	s_lshl_b64 s[0:1], s[6:7], 3
	v_dual_mov_b32 v47, 0 :: v_dual_and_b32 v76, 15, v0
	s_add_u32 s0, s10, s0
	s_addc_u32 s1, s11, s1
	v_cmp_gt_u32_e32 vcc_lo, 0x80, v0
	s_load_b64 s[6:7], s[0:1], 0x0
	v_mad_u64_u32 v[57:58], null, s14, v76, 0
	v_mov_b32_e32 v62, s23
	v_or_b32_e32 v61, s22, v76
	v_cndmask_b32_e64 v4, 0, 1, vcc_lo
	v_cmp_lt_u32_e64 s0, 0x7f, v0
	v_lshrrev_b32_e32 v77, 4, v0
	v_mov_b32_e32 v3, v58
	v_cmp_gt_u64_e32 vcc_lo, s[16:17], v[61:62]
	s_delay_alu instid0(VALU_DEP_2) | instskip(SKIP_4) | instid1(SALU_CYCLE_1)
	v_mad_u64_u32 v[5:6], null, s15, v76, v[3:4]
	v_cndmask_b32_e64 v7, 0, 1, vcc_lo
	s_waitcnt lgkmcnt(0)
	s_mul_i32 s1, s7, s24
	s_mul_hi_u32 s7, s6, s24
	s_add_i32 s7, s7, s1
	s_add_u32 s8, s22, 16
	s_addc_u32 s9, s23, 0
	s_delay_alu instid0(SALU_CYCLE_1) | instskip(NEXT) | instid1(VALU_DEP_1)
	v_cmp_le_u64_e64 s33, s[8:9], s[16:17]
	s_or_b32 s0, s0, s33
	s_delay_alu instid0(SALU_CYCLE_1)
	v_cndmask_b32_e64 v6, v7, v4, s0
	v_mov_b32_e32 v48, 0
	s_mul_i32 s0, s6, s24
	v_mov_b32_e32 v58, v5
	v_add_co_u32 v59, s0, s0, v1
	v_and_b32_e32 v5, 1, v6
	v_add_co_ci_u32_e64 v60, s0, s7, v2, s0
	v_mov_b32_e32 v1, v47
	v_dual_mov_b32 v3, v47 :: v_dual_mov_b32 v4, v48
	s_delay_alu instid0(VALU_DEP_4) | instskip(SKIP_1) | instid1(VALU_DEP_2)
	v_cmp_eq_u32_e64 s0, 1, v5
	v_mov_b32_e32 v2, v48
	s_and_saveexec_b32 s6, s0
	s_cbranch_execz .LBB0_15
; %bb.14:
	v_mul_lo_u32 v1, s12, v77
	v_mov_b32_e32 v2, 0
	s_delay_alu instid0(VALU_DEP_2) | instskip(NEXT) | instid1(VALU_DEP_1)
	v_add3_u32 v1, v59, v57, v1
	v_lshlrev_b64 v[1:2], 4, v[1:2]
	s_delay_alu instid0(VALU_DEP_1) | instskip(NEXT) | instid1(VALU_DEP_1)
	v_add_co_u32 v1, s1, s2, v1
	v_add_co_ci_u32_e64 v2, s1, s3, v2, s1
	global_load_b128 v[1:4], v[1:2], off
.LBB0_15:
	s_or_b32 exec_lo, exec_lo, s6
	v_dual_mov_b32 v45, v47 :: v_dual_mov_b32 v46, v48
	s_and_saveexec_b32 s6, s0
	s_cbranch_execz .LBB0_17
; %bb.16:
	v_dual_mov_b32 v6, 0 :: v_dual_add_nc_u32 v5, 8, v77
	s_delay_alu instid0(VALU_DEP_1) | instskip(NEXT) | instid1(VALU_DEP_1)
	v_mul_lo_u32 v5, s12, v5
	v_add3_u32 v5, v59, v57, v5
	s_delay_alu instid0(VALU_DEP_1) | instskip(NEXT) | instid1(VALU_DEP_1)
	v_lshlrev_b64 v[5:6], 4, v[5:6]
	v_add_co_u32 v5, s1, s2, v5
	s_delay_alu instid0(VALU_DEP_1)
	v_add_co_ci_u32_e64 v6, s1, s3, v6, s1
	global_load_b128 v[45:48], v[5:6], off
.LBB0_17:
	s_or_b32 exec_lo, exec_lo, s6
	v_mov_b32_e32 v51, 0
	v_mov_b32_e32 v52, 0
	s_delay_alu instid0(VALU_DEP_2) | instskip(NEXT) | instid1(VALU_DEP_2)
	v_mov_b32_e32 v39, v51
	v_dual_mov_b32 v37, v51 :: v_dual_mov_b32 v38, v52
	v_mov_b32_e32 v40, v52
	s_and_saveexec_b32 s6, s0
	s_cbranch_execz .LBB0_19
; %bb.18:
	v_or_b32_e32 v5, 16, v77
	v_mov_b32_e32 v6, 0
	s_delay_alu instid0(VALU_DEP_2) | instskip(NEXT) | instid1(VALU_DEP_1)
	v_mul_lo_u32 v5, s12, v5
	v_add3_u32 v5, v59, v57, v5
	s_delay_alu instid0(VALU_DEP_1) | instskip(NEXT) | instid1(VALU_DEP_1)
	v_lshlrev_b64 v[5:6], 4, v[5:6]
	v_add_co_u32 v5, s1, s2, v5
	s_delay_alu instid0(VALU_DEP_1)
	v_add_co_ci_u32_e64 v6, s1, s3, v6, s1
	global_load_b128 v[37:40], v[5:6], off
.LBB0_19:
	s_or_b32 exec_lo, exec_lo, s6
	v_dual_mov_b32 v49, v51 :: v_dual_mov_b32 v50, v52
	s_and_saveexec_b32 s6, s0
	s_cbranch_execz .LBB0_21
; %bb.20:
	v_dual_mov_b32 v6, 0 :: v_dual_add_nc_u32 v5, 24, v77
	s_delay_alu instid0(VALU_DEP_1) | instskip(NEXT) | instid1(VALU_DEP_1)
	v_mul_lo_u32 v5, s12, v5
	v_add3_u32 v5, v59, v57, v5
	s_delay_alu instid0(VALU_DEP_1) | instskip(NEXT) | instid1(VALU_DEP_1)
	v_lshlrev_b64 v[5:6], 4, v[5:6]
	v_add_co_u32 v5, s1, s2, v5
	s_delay_alu instid0(VALU_DEP_1)
	v_add_co_ci_u32_e64 v6, s1, s3, v6, s1
	global_load_b128 v[49:52], v[5:6], off
.LBB0_21:
	s_or_b32 exec_lo, exec_lo, s6
	v_mov_b32_e32 v31, 0
	v_mov_b32_e32 v32, 0
	s_delay_alu instid0(VALU_DEP_1)
	v_dual_mov_b32 v44, v32 :: v_dual_mov_b32 v43, v31
	v_dual_mov_b32 v42, v32 :: v_dual_mov_b32 v41, v31
	s_and_saveexec_b32 s6, s0
	s_cbranch_execz .LBB0_23
; %bb.22:
	v_or_b32_e32 v5, 32, v77
	v_mov_b32_e32 v6, 0
	s_delay_alu instid0(VALU_DEP_2) | instskip(NEXT) | instid1(VALU_DEP_1)
	v_mul_lo_u32 v5, s12, v5
	v_add3_u32 v5, v59, v57, v5
	s_delay_alu instid0(VALU_DEP_1) | instskip(NEXT) | instid1(VALU_DEP_1)
	v_lshlrev_b64 v[5:6], 4, v[5:6]
	v_add_co_u32 v5, s1, s2, v5
	s_delay_alu instid0(VALU_DEP_1)
	v_add_co_ci_u32_e64 v6, s1, s3, v6, s1
	global_load_b128 v[41:44], v[5:6], off
.LBB0_23:
	s_or_b32 exec_lo, exec_lo, s6
	v_dual_mov_b32 v29, v31 :: v_dual_mov_b32 v30, v32
	s_and_saveexec_b32 s6, s0
	s_cbranch_execz .LBB0_25
; %bb.24:
	v_dual_mov_b32 v6, 0 :: v_dual_add_nc_u32 v5, 40, v77
	s_delay_alu instid0(VALU_DEP_1) | instskip(NEXT) | instid1(VALU_DEP_1)
	v_mul_lo_u32 v5, s12, v5
	v_add3_u32 v5, v59, v57, v5
	s_delay_alu instid0(VALU_DEP_1) | instskip(NEXT) | instid1(VALU_DEP_1)
	v_lshlrev_b64 v[5:6], 4, v[5:6]
	v_add_co_u32 v5, s1, s2, v5
	s_delay_alu instid0(VALU_DEP_1)
	v_add_co_ci_u32_e64 v6, s1, s3, v6, s1
	global_load_b128 v[29:32], v[5:6], off
.LBB0_25:
	s_or_b32 exec_lo, exec_lo, s6
	v_mov_b32_e32 v27, 0
	v_mov_b32_e32 v28, 0
	s_delay_alu instid0(VALU_DEP_1)
	v_dual_mov_b32 v36, v28 :: v_dual_mov_b32 v35, v27
	v_dual_mov_b32 v34, v28 :: v_dual_mov_b32 v33, v27
	;; [unrolled: 37-line block ×4, first 2 shown]
	s_and_saveexec_b32 s6, s0
	s_cbranch_execz .LBB0_35
; %bb.34:
	v_or_b32_e32 v5, 0x50, v77
	v_mov_b32_e32 v6, 0
	s_delay_alu instid0(VALU_DEP_2) | instskip(NEXT) | instid1(VALU_DEP_1)
	v_mul_lo_u32 v5, s12, v5
	v_add3_u32 v5, v59, v57, v5
	s_delay_alu instid0(VALU_DEP_1) | instskip(NEXT) | instid1(VALU_DEP_1)
	v_lshlrev_b64 v[5:6], 4, v[5:6]
	v_add_co_u32 v5, s1, s2, v5
	s_delay_alu instid0(VALU_DEP_1)
	v_add_co_ci_u32_e64 v6, s1, s3, v6, s1
	global_load_b128 v[17:20], v[5:6], off
.LBB0_35:
	s_or_b32 exec_lo, exec_lo, s6
	v_dual_mov_b32 v5, v7 :: v_dual_mov_b32 v6, v8
	s_and_saveexec_b32 s6, s0
	s_cbranch_execz .LBB0_37
; %bb.36:
	v_dual_mov_b32 v6, 0 :: v_dual_add_nc_u32 v5, 0x58, v77
	s_delay_alu instid0(VALU_DEP_1) | instskip(NEXT) | instid1(VALU_DEP_1)
	v_mul_lo_u32 v5, s12, v5
	v_add3_u32 v5, v59, v57, v5
	s_delay_alu instid0(VALU_DEP_1) | instskip(NEXT) | instid1(VALU_DEP_1)
	v_lshlrev_b64 v[5:6], 4, v[5:6]
	v_add_co_u32 v5, s1, s2, v5
	s_delay_alu instid0(VALU_DEP_1)
	v_add_co_ci_u32_e64 v6, s1, s3, v6, s1
	global_load_b128 v[5:8], v[5:6], off
.LBB0_37:
	s_or_b32 exec_lo, exec_lo, s6
	v_mov_b32_e32 v11, 0
	v_mov_b32_e32 v12, 0
	s_delay_alu instid0(VALU_DEP_1)
	v_dual_mov_b32 v9, v11 :: v_dual_mov_b32 v10, v12
	s_and_saveexec_b32 s1, s0
	s_cbranch_execz .LBB0_39
; %bb.38:
	v_or_b32_e32 v9, 0x60, v77
	v_mov_b32_e32 v10, 0
	s_delay_alu instid0(VALU_DEP_2) | instskip(NEXT) | instid1(VALU_DEP_1)
	v_mul_lo_u32 v9, s12, v9
	v_add3_u32 v9, v59, v57, v9
	s_delay_alu instid0(VALU_DEP_1) | instskip(NEXT) | instid1(VALU_DEP_1)
	v_lshlrev_b64 v[9:10], 4, v[9:10]
	v_add_co_u32 v9, s0, s2, v9
	s_delay_alu instid0(VALU_DEP_1)
	v_add_co_ci_u32_e64 v10, s0, s3, v10, s0
	global_load_b128 v[9:12], v[9:10], off
.LBB0_39:
	s_or_b32 exec_lo, exec_lo, s1
	s_delay_alu instid0(SALU_CYCLE_1)
	s_mov_b32 s44, exec_lo
	v_cmpx_gt_u32_e32 0x80, v0
	s_cbranch_execz .LBB0_41
; %bb.40:
	s_waitcnt vmcnt(0)
	v_add_f64 v[53:54], v[3:4], v[47:48]
	v_add_f64 v[55:56], v[1:2], v[45:46]
	v_add_f64 v[78:79], v[45:46], -v[9:10]
	v_add_f64 v[80:81], v[45:46], v[9:10]
	s_mov_b32 s10, 0x24c2f84
	s_mov_b32 s0, 0x4bc48dbf
	s_mov_b32 s26, 0xd0032e0c
	s_mov_b32 s11, 0xbfe5384d
	s_mov_b32 s1, 0xbfcea1e5
	s_mov_b32 s27, 0xbfe7f3cc
	v_add_f64 v[74:75], v[47:48], v[11:12]
	v_add_f64 v[86:87], v[41:42], -v[13:14]
	v_add_f64 v[88:89], v[47:48], -v[11:12]
	;; [unrolled: 1-line block ×3, first 2 shown]
	v_add_f64 v[68:69], v[43:44], v[15:16]
	v_add_f64 v[92:93], v[41:42], v[13:14]
	v_add_f64 v[66:67], v[43:44], -v[15:16]
	v_add_f64 v[96:97], v[37:38], -v[5:6]
	s_mov_b32 s24, 0x66966769
	s_mov_b32 s20, 0x2ef20147
	s_mov_b32 s6, 0x42a4c3d2
	s_mov_b32 s14, 0x4267c47c
	s_mov_b32 s36, 0xebaa3ed8
	s_mov_b32 s34, 0xb2365da1
	s_mov_b32 s28, 0x1ea71119
	s_mov_b32 s22, 0xe00740e9
	s_mov_b32 s18, 0x93053d00
	s_mov_b32 s25, 0x3fefc445
	s_mov_b32 s21, 0xbfedeba7
	s_mov_b32 s7, 0x3fea55e2
	s_mov_b32 s15, 0x3fddbe06
	s_mov_b32 s31, 0xbfefc445
	s_mov_b32 s17, 0xbfea55e2
	s_mov_b32 s9, 0xbfddbe06
	s_mov_b32 s37, 0x3fbedb7d
	s_mov_b32 s35, 0xbfd6b1d8
	s_mov_b32 s29, 0x3fe22d96
	s_mov_b32 s23, 0x3fec55a7
	v_add_f64 v[82:83], v[53:54], v[39:40]
	v_add_f64 v[84:85], v[55:56], v[37:38]
	;; [unrolled: 1-line block ×3, first 2 shown]
	v_mul_f64 v[100:101], v[78:79], s[0:1]
	v_mul_f64 v[104:105], v[78:79], s[10:11]
	;; [unrolled: 1-line block ×3, first 2 shown]
	s_mov_b32 s19, 0xbfef11f4
	s_mov_b32 s43, 0x3fedeba7
	;; [unrolled: 1-line block ×8, first 2 shown]
	v_add_f64 v[72:73], v[29:30], -v[21:22]
	v_add_f64 v[64:65], v[31:32], v[23:24]
	v_add_f64 v[70:71], v[29:30], v[21:22]
	v_add_f64 v[47:48], v[31:32], -v[23:24]
	v_add_f64 v[94:95], v[51:52], v[19:20]
	v_add_f64 v[98:99], v[39:40], v[7:8]
	v_add_f64 v[39:40], v[39:40], -v[7:8]
	v_mul_f64 v[102:103], v[80:81], s[18:19]
	v_mul_f64 v[108:109], v[78:79], s[20:21]
	;; [unrolled: 1-line block ×14, first 2 shown]
	s_mov_b32 s39, 0x3fcea1e5
	s_mov_b32 s38, s0
	v_mul_f64 v[140:141], v[96:97], s[40:41]
	v_add_f64 v[82:83], v[82:83], v[51:52]
	v_add_f64 v[84:85], v[84:85], v[49:50]
	;; [unrolled: 1-line block ×3, first 2 shown]
	v_mul_f64 v[148:149], v[37:38], s[36:37]
	v_fma_f64 v[182:183], v[74:75], s[18:19], v[100:101]
	v_fma_f64 v[100:101], v[74:75], s[18:19], -v[100:101]
	v_fma_f64 v[186:187], v[74:75], s[26:27], v[104:105]
	v_fma_f64 v[188:189], v[88:89], s[40:41], v[106:107]
	v_fma_f64 v[104:105], v[74:75], s[26:27], -v[104:105]
	v_add_f64 v[51:52], v[51:52], -v[19:20]
	v_mul_f64 v[142:143], v[96:97], s[0:1]
	v_mul_f64 v[144:145], v[96:97], s[20:21]
	;; [unrolled: 1-line block ×6, first 2 shown]
	v_fma_f64 v[106:107], v[88:89], s[10:11], v[106:107]
	v_mul_f64 v[37:38], v[37:38], s[28:29]
	v_add_f64 v[53:54], v[33:34], -v[25:26]
	v_add_f64 v[45:46], v[35:36], v[27:28]
	v_add_f64 v[62:63], v[33:34], v[25:26]
	v_fma_f64 v[184:185], v[88:89], s[38:39], v[102:103]
	v_fma_f64 v[102:103], v[88:89], s[0:1], v[102:103]
	v_add_f64 v[55:56], v[35:36], -v[27:28]
	v_fma_f64 v[190:191], v[74:75], s[36:37], v[112:113]
	v_fma_f64 v[192:193], v[88:89], s[24:25], v[114:115]
	v_fma_f64 v[112:113], v[74:75], s[36:37], -v[112:113]
	v_fma_f64 v[114:115], v[88:89], s[30:31], v[114:115]
	v_fma_f64 v[194:195], v[74:75], s[28:29], v[116:117]
	;; [unrolled: 1-line block ×3, first 2 shown]
	v_fma_f64 v[116:117], v[74:75], s[28:29], -v[116:117]
	v_fma_f64 v[118:119], v[88:89], s[16:17], v[118:119]
	v_fma_f64 v[198:199], v[74:75], s[22:23], v[78:79]
	;; [unrolled: 1-line block ×4, first 2 shown]
	v_fma_f64 v[134:135], v[94:95], s[22:23], -v[134:135]
	v_fma_f64 v[204:205], v[94:95], s[34:35], v[136:137]
	v_fma_f64 v[136:137], v[94:95], s[34:35], -v[136:137]
	v_add_f64 v[43:44], v[82:83], v[43:44]
	v_add_f64 v[41:42], v[84:85], v[41:42]
	v_mul_f64 v[82:83], v[90:91], s[30:31]
	v_mul_f64 v[84:85], v[96:97], s[14:15]
	;; [unrolled: 1-line block ×5, first 2 shown]
	v_fma_f64 v[206:207], v[94:95], s[18:19], v[138:139]
	v_fma_f64 v[138:139], v[94:95], s[18:19], -v[138:139]
	v_fma_f64 v[216:217], v[39:40], s[30:31], v[148:149]
	v_add_f64 v[100:101], v[3:4], v[100:101]
	v_add_f64 v[186:187], v[3:4], v[186:187]
	;; [unrolled: 1-line block ×4, first 2 shown]
	v_mul_f64 v[120:121], v[86:87], s[6:7]
	v_mul_f64 v[122:123], v[86:87], s[38:39]
	;; [unrolled: 1-line block ×7, first 2 shown]
	v_fma_f64 v[212:213], v[98:99], s[26:27], v[140:141]
	v_fma_f64 v[140:141], v[98:99], s[26:27], -v[140:141]
	v_fma_f64 v[214:215], v[98:99], s[18:19], v[142:143]
	v_fma_f64 v[142:143], v[98:99], s[18:19], -v[142:143]
	v_add_f64 v[182:183], v[3:4], v[182:183]
	v_fma_f64 v[148:149], v[39:40], s[24:25], v[148:149]
	v_add_f64 v[184:185], v[1:2], v[184:185]
	v_add_f64 v[102:103], v[1:2], v[102:103]
	v_add_f64 v[106:107], v[1:2], v[106:107]
	v_add_f64 v[190:191], v[3:4], v[190:191]
	v_add_f64 v[192:193], v[1:2], v[192:193]
	v_add_f64 v[112:113], v[3:4], v[112:113]
	v_add_f64 v[114:115], v[1:2], v[114:115]
	v_add_f64 v[194:195], v[3:4], v[194:195]
	v_add_f64 v[196:197], v[1:2], v[196:197]
	v_add_f64 v[116:117], v[3:4], v[116:117]
	v_add_f64 v[118:119], v[1:2], v[118:119]
	v_add_f64 v[31:32], v[43:44], v[31:32]
	v_add_f64 v[29:30], v[41:42], v[29:30]
	v_fma_f64 v[41:42], v[74:75], s[34:35], v[108:109]
	v_fma_f64 v[43:44], v[88:89], s[42:43], v[110:111]
	v_fma_f64 v[108:109], v[74:75], s[34:35], -v[108:109]
	v_fma_f64 v[110:111], v[88:89], s[20:21], v[110:111]
	v_fma_f64 v[74:75], v[74:75], s[22:23], -v[78:79]
	v_fma_f64 v[78:79], v[88:89], s[8:9], v[80:81]
	v_fma_f64 v[80:81], v[94:95], s[26:27], v[130:131]
	v_fma_f64 v[88:89], v[94:95], s[26:27], -v[130:131]
	v_fma_f64 v[130:131], v[94:95], s[28:29], v[132:133]
	v_fma_f64 v[132:133], v[94:95], s[28:29], -v[132:133]
	;; [unrolled: 2-line block ×5, first 2 shown]
	v_add_f64 v[198:199], v[3:4], v[198:199]
	v_add_f64 v[200:201], v[1:2], v[200:201]
	;; [unrolled: 1-line block ×3, first 2 shown]
	v_mul_f64 v[49:50], v[49:50], s[36:37]
	v_mul_f64 v[124:125], v[86:87], s[30:31]
	;; [unrolled: 1-line block ×9, first 2 shown]
	v_add_f64 v[106:107], v[148:149], v[106:107]
	v_add_f64 v[190:191], v[214:215], v[190:191]
	;; [unrolled: 1-line block ×3, first 2 shown]
	v_fma_f64 v[142:143], v[68:69], s[18:19], v[122:123]
	v_fma_f64 v[122:123], v[68:69], s[18:19], -v[122:123]
	v_fma_f64 v[216:217], v[51:52], s[38:39], v[164:165]
	v_mul_f64 v[166:167], v[92:93], s[28:29]
	v_mul_f64 v[92:93], v[92:93], s[34:35]
	v_add_f64 v[31:32], v[31:32], v[35:36]
	v_add_f64 v[29:30], v[29:30], v[33:34]
	v_fma_f64 v[33:34], v[98:99], s[34:35], v[144:145]
	v_fma_f64 v[35:36], v[98:99], s[34:35], -v[144:145]
	v_fma_f64 v[144:145], v[39:40], s[8:9], v[146:147]
	v_fma_f64 v[146:147], v[39:40], s[14:15], v[146:147]
	v_add_f64 v[41:42], v[3:4], v[41:42]
	v_add_f64 v[43:44], v[1:2], v[43:44]
	;; [unrolled: 1-line block ×6, first 2 shown]
	v_fma_f64 v[74:75], v[39:40], s[10:11], v[150:151]
	v_fma_f64 v[78:79], v[98:99], s[28:29], v[96:97]
	v_fma_f64 v[96:97], v[98:99], s[28:29], -v[96:97]
	v_fma_f64 v[98:99], v[39:40], s[40:41], v[150:151]
	v_fma_f64 v[150:151], v[39:40], s[38:39], v[152:153]
	;; [unrolled: 1-line block ×3, first 2 shown]
	v_add_f64 v[84:85], v[84:85], v[100:101]
	v_fma_f64 v[100:101], v[51:52], s[6:7], v[158:159]
	v_add_f64 v[186:187], v[210:211], v[186:187]
	v_add_f64 v[90:91], v[90:91], v[104:105]
	;; [unrolled: 1-line block ×3, first 2 shown]
	v_fma_f64 v[158:159], v[51:52], s[16:17], v[158:159]
	v_fma_f64 v[210:211], v[51:52], s[20:21], v[162:163]
	;; [unrolled: 1-line block ×6, first 2 shown]
	v_mul_f64 v[176:177], v[72:73], s[20:21]
	v_mul_f64 v[148:149], v[70:71], s[18:19]
	;; [unrolled: 1-line block ×3, first 2 shown]
	v_add_f64 v[112:113], v[136:137], v[112:113]
	v_mul_f64 v[182:183], v[53:54], s[24:25]
	v_mul_f64 v[214:215], v[62:63], s[36:37]
	v_fma_f64 v[136:137], v[66:67], s[42:43], v[92:93]
	v_add_f64 v[27:28], v[31:32], v[27:28]
	v_add_f64 v[25:26], v[29:30], v[25:26]
	v_fma_f64 v[31:32], v[39:40], s[20:21], v[154:155]
	v_fma_f64 v[29:30], v[39:40], s[42:43], v[154:155]
	;; [unrolled: 1-line block ×4, first 2 shown]
	v_mul_f64 v[39:40], v[70:71], s[22:23]
	v_add_f64 v[144:145], v[144:145], v[184:185]
	v_fma_f64 v[184:185], v[51:52], s[40:41], v[156:157]
	v_add_f64 v[102:103], v[146:147], v[102:103]
	v_fma_f64 v[146:147], v[51:52], s[8:9], v[160:161]
	v_fma_f64 v[160:161], v[51:52], s[14:15], v[160:161]
	v_add_f64 v[41:42], v[212:213], v[41:42]
	v_add_f64 v[43:44], v[74:75], v[43:44]
	;; [unrolled: 1-line block ×5, first 2 shown]
	v_fma_f64 v[192:193], v[68:69], s[28:29], v[120:121]
	v_fma_f64 v[120:121], v[68:69], s[28:29], -v[120:121]
	v_add_f64 v[84:85], v[88:89], v[84:85]
	v_add_f64 v[130:131], v[130:131], v[186:187]
	v_fma_f64 v[186:187], v[66:67], s[0:1], v[168:169]
	v_add_f64 v[100:101], v[100:101], v[188:189]
	v_add_f64 v[90:91], v[132:133], v[90:91]
	;; [unrolled: 1-line block ×4, first 2 shown]
	v_fma_f64 v[156:157], v[51:52], s[10:11], v[156:157]
	v_add_f64 v[3:4], v[96:97], v[3:4]
	v_mul_f64 v[51:52], v[72:73], s[38:39]
	v_mul_f64 v[212:213], v[72:73], s[16:17]
	;; [unrolled: 1-line block ×6, first 2 shown]
	v_add_f64 v[80:81], v[80:81], v[94:95]
	v_fma_f64 v[94:95], v[68:69], s[36:37], v[124:125]
	v_fma_f64 v[124:125], v[68:69], s[36:37], -v[124:125]
	v_fma_f64 v[88:89], v[68:69], s[26:27], v[128:129]
	v_add_f64 v[23:24], v[27:28], v[23:24]
	v_add_f64 v[21:22], v[25:26], v[21:22]
	;; [unrolled: 1-line block ×9, first 2 shown]
	v_fma_f64 v[184:185], v[68:69], s[22:23], v[126:127]
	v_fma_f64 v[126:127], v[68:69], s[22:23], -v[126:127]
	v_fma_f64 v[33:34], v[66:67], s[38:39], v[168:169]
	v_fma_f64 v[114:115], v[66:67], s[24:25], v[170:171]
	;; [unrolled: 1-line block ×6, first 2 shown]
	v_fma_f64 v[118:119], v[64:65], s[22:23], -v[180:181]
	v_add_f64 v[37:38], v[158:159], v[106:107]
	v_add_f64 v[41:42], v[202:203], v[41:42]
	;; [unrolled: 1-line block ×11, first 2 shown]
	v_fma_f64 v[122:123], v[68:69], s[26:27], -v[128:129]
	v_fma_f64 v[128:129], v[68:69], s[34:35], v[86:87]
	v_fma_f64 v[130:131], v[66:67], s[40:41], v[174:175]
	v_add_f64 v[35:36], v[138:139], v[35:36]
	v_add_f64 v[78:79], v[208:209], v[78:79]
	v_fma_f64 v[188:189], v[64:65], s[22:23], v[180:181]
	v_fma_f64 v[68:69], v[68:69], s[34:35], -v[86:87]
	v_fma_f64 v[86:87], v[66:67], s[10:11], v[174:175]
	v_add_f64 v[102:103], v[156:157], v[102:103]
	v_add_f64 v[15:16], v[23:24], v[15:16]
	;; [unrolled: 1-line block ×7, first 2 shown]
	v_fma_f64 v[156:157], v[66:67], s[16:17], v[166:167]
	v_fma_f64 v[166:167], v[66:67], s[6:7], v[166:167]
	v_mul_f64 v[70:71], v[70:71], s[26:27]
	v_fma_f64 v[66:67], v[66:67], s[20:21], v[92:93]
	v_add_f64 v[3:4], v[82:83], v[3:4]
	v_add_f64 v[1:2], v[49:50], v[1:2]
	;; [unrolled: 1-line block ×3, first 2 shown]
	v_fma_f64 v[170:171], v[64:65], s[34:35], v[176:177]
	v_fma_f64 v[176:177], v[64:65], s[34:35], -v[176:177]
	v_mul_f64 v[27:28], v[62:63], s[34:35]
	v_fma_f64 v[39:40], v[47:48], s[14:15], v[39:40]
	v_mul_f64 v[25:26], v[53:54], s[20:21]
	v_add_f64 v[33:34], v[33:34], v[37:38]
	v_add_f64 v[37:38], v[94:95], v[41:42]
	v_add_f64 v[41:42], v[114:115], v[43:44]
	v_add_f64 v[43:44], v[124:125], v[96:97]
	v_add_f64 v[49:50], v[132:133], v[98:99]
	v_add_f64 v[82:83], v[184:185], v[106:107]
	v_add_f64 v[94:95], v[152:153], v[108:109]
	v_add_f64 v[96:97], v[126:127], v[112:113]
	v_fma_f64 v[108:109], v[64:65], s[28:29], v[212:213]
	v_add_f64 v[100:101], v[116:117], v[100:101]
	v_add_f64 v[90:91], v[118:119], v[90:91]
	v_fma_f64 v[112:113], v[47:48], s[6:7], v[74:75]
	v_fma_f64 v[114:115], v[64:65], s[28:29], -v[212:213]
	v_fma_f64 v[116:117], v[64:65], s[36:37], v[140:141]
	v_add_f64 v[35:36], v[122:123], v[35:36]
	v_fma_f64 v[118:119], v[47:48], s[30:31], v[110:111]
	v_fma_f64 v[122:123], v[64:65], s[36:37], -v[140:141]
	v_add_f64 v[78:79], v[128:129], v[78:79]
	v_mul_f64 v[124:125], v[53:54], s[14:15]
	v_fma_f64 v[110:111], v[47:48], s[24:25], v[110:111]
	v_add_f64 v[15:16], v[15:16], v[19:20]
	v_add_f64 v[13:14], v[13:14], v[17:18]
	;; [unrolled: 1-line block ×4, first 2 shown]
	v_fma_f64 v[21:22], v[64:65], s[18:19], v[51:52]
	v_fma_f64 v[23:24], v[47:48], s[0:1], v[148:149]
	v_fma_f64 v[51:52], v[64:65], s[18:19], -v[51:52]
	v_fma_f64 v[88:89], v[47:48], s[38:39], v[148:149]
	v_add_f64 v[31:32], v[130:131], v[31:32]
	v_fma_f64 v[128:129], v[64:65], s[26:27], v[72:73]
	v_fma_f64 v[64:65], v[64:65], s[26:27], -v[72:73]
	v_mul_f64 v[72:73], v[62:63], s[22:23]
	v_add_f64 v[106:107], v[188:189], v[120:121]
	v_fma_f64 v[74:75], v[47:48], s[16:17], v[74:75]
	v_add_f64 v[29:30], v[86:87], v[29:30]
	v_mul_f64 v[86:87], v[53:54], s[6:7]
	v_mul_f64 v[120:121], v[53:54], s[10:11]
	;; [unrolled: 1-line block ×4, first 2 shown]
	v_fma_f64 v[172:173], v[47:48], s[42:43], v[178:179]
	v_fma_f64 v[178:179], v[47:48], s[20:21], v[178:179]
	v_add_f64 v[134:135], v[156:157], v[144:145]
	v_add_f64 v[102:103], v[166:167], v[102:103]
	;; [unrolled: 1-line block ×4, first 2 shown]
	v_mul_f64 v[53:54], v[53:54], s[0:1]
	v_add_f64 v[1:2], v[66:67], v[1:2]
	v_fma_f64 v[66:67], v[47:48], s[10:11], v[70:71]
	v_mul_f64 v[62:63], v[62:63], s[18:19]
	v_add_f64 v[104:105], v[136:137], v[104:105]
	v_fma_f64 v[47:48], v[47:48], s[40:41], v[70:71]
	v_fma_f64 v[70:71], v[55:56], s[42:43], v[27:28]
	v_add_f64 v[33:34], v[39:40], v[33:34]
	v_fma_f64 v[27:28], v[55:56], s[20:21], v[27:28]
	v_add_f64 v[35:36], v[122:123], v[35:36]
	v_fma_f64 v[136:137], v[45:46], s[34:35], v[25:26]
	v_fma_f64 v[25:26], v[45:46], s[34:35], -v[25:26]
	v_add_f64 v[84:85], v[176:177], v[84:85]
	v_fma_f64 v[132:133], v[45:46], s[36:37], -v[182:183]
	v_fma_f64 v[92:93], v[45:46], s[36:37], v[182:183]
	v_fma_f64 v[68:69], v[55:56], s[30:31], v[214:215]
	v_add_f64 v[138:139], v[15:16], v[7:8]
	v_add_f64 v[21:22], v[21:22], v[37:38]
	;; [unrolled: 1-line block ×9, first 2 shown]
	v_fma_f64 v[112:113], v[45:46], s[22:23], -v[124:125]
	v_fma_f64 v[114:115], v[55:56], s[14:15], v[72:73]
	v_add_f64 v[74:75], v[74:75], v[17:18]
	v_add_f64 v[82:83], v[116:117], v[19:20]
	;; [unrolled: 1-line block ×3, first 2 shown]
	v_fma_f64 v[29:30], v[45:46], s[28:29], -v[86:87]
	v_fma_f64 v[94:95], v[45:46], s[26:27], -v[120:121]
	v_fma_f64 v[116:117], v[55:56], s[10:11], v[130:131]
	v_fma_f64 v[118:119], v[55:56], s[6:7], v[126:127]
	v_add_f64 v[98:99], v[172:173], v[134:135]
	v_add_f64 v[102:103], v[178:179], v[102:103]
	v_fma_f64 v[134:135], v[55:56], s[24:25], v[214:215]
	v_add_f64 v[80:81], v[170:171], v[80:81]
	v_fma_f64 v[23:24], v[45:46], s[28:29], v[86:87]
	v_fma_f64 v[96:97], v[55:56], s[16:17], v[126:127]
	;; [unrolled: 1-line block ×3, first 2 shown]
	v_fma_f64 v[122:123], v[45:46], s[18:19], -v[53:54]
	v_add_f64 v[64:65], v[64:65], v[3:4]
	v_add_f64 v[66:67], v[66:67], v[1:2]
	v_fma_f64 v[124:125], v[55:56], s[0:1], v[62:63]
	v_add_f64 v[140:141], v[13:14], v[5:6]
	v_fma_f64 v[86:87], v[45:46], s[26:27], v[120:121]
	v_fma_f64 v[120:121], v[55:56], s[40:41], v[130:131]
	;; [unrolled: 1-line block ×3, first 2 shown]
	v_add_f64 v[78:79], v[128:129], v[78:79]
	v_fma_f64 v[53:54], v[45:46], s[18:19], v[53:54]
	v_fma_f64 v[55:56], v[55:56], s[38:39], v[62:63]
	v_add_f64 v[62:63], v[47:48], v[104:105]
	v_add_f64 v[17:18], v[27:28], v[33:34]
	;; [unrolled: 1-line block ×26, first 2 shown]
	v_mul_u32_u24_e32 v53, 0xd00, v77
	v_add_f64 v[49:50], v[55:56], v[62:63]
	v_lshlrev_b32_e32 v54, 4, v76
	s_delay_alu instid0(VALU_DEP_1)
	v_add3_u32 v53, 0, v53, v54
	ds_store_b128 v53, v[33:36] offset:512
	ds_store_b128 v53, v[29:32] offset:768
	;; [unrolled: 1-line block ×9, first 2 shown]
	ds_store_b128 v53, v[9:12]
	ds_store_b128 v53, v[37:40] offset:2560
	ds_store_b128 v53, v[41:44] offset:2816
	;; [unrolled: 1-line block ×3, first 2 shown]
.LBB0_41:
	s_or_b32 exec_lo, exec_lo, s44
	s_or_b32 s0, s33, vcc_lo
	s_waitcnt vmcnt(0) lgkmcnt(0)
	s_barrier
	buffer_gl0_inv
	s_and_saveexec_b32 s1, s0
	s_cbranch_execz .LBB0_43
; %bb.42:
	v_mul_hi_u32 v1, 0x13b13b14, v77
	v_lshlrev_b32_e32 v29, 8, v77
	v_lshlrev_b32_e32 v30, 4, v76
	s_add_i32 s0, 0, 0x6800
	v_lshlrev_b64 v[59:60], 4, v[59:60]
	s_mov_b32 s1, 0xbfe6a09e
	v_lshlrev_b64 v[57:58], 4, v[57:58]
	v_add3_u32 v63, 0, v29, v30
	v_mul_u32_u24_e32 v1, 13, v1
	s_delay_alu instid0(VALU_DEP_1) | instskip(NEXT) | instid1(VALU_DEP_1)
	v_sub_nc_u32_e32 v62, v77, v1
	v_mul_u32_u24_e32 v1, 7, v62
	v_add_nc_u32_e32 v81, 0x5b, v62
	v_mul_lo_u32 v82, v62, v61
	s_delay_alu instid0(VALU_DEP_3) | instskip(NEXT) | instid1(VALU_DEP_3)
	v_lshlrev_b32_e32 v21, 4, v1
	v_mul_lo_u32 v81, v81, v61
	v_mul_lo_u32 v61, v61, -13
	s_clause 0x6
	global_load_b128 v[1:4], v21, s[4:5]
	global_load_b128 v[5:8], v21, s[4:5] offset:64
	global_load_b128 v[9:12], v21, s[4:5] offset:32
	;; [unrolled: 1-line block ×6, first 2 shown]
	ds_load_b128 v[29:32], v63 offset:3328
	ds_load_b128 v[33:36], v63 offset:16640
	;; [unrolled: 1-line block ×7, first 2 shown]
	ds_load_b128 v[63:66], v63
	v_lshrrev_b32_e32 v83, 8, v82
	v_and_b32_e32 v84, 63, v82
	v_lshrrev_b32_e32 v85, 8, v81
	v_and_b32_e32 v86, 63, v81
	v_lshrrev_b32_e32 v87, 2, v81
	v_add_nc_u32_e32 v81, v81, v61
	v_lshrrev_b32_e32 v82, 2, v82
	v_lshl_add_u32 v84, v84, 4, 0
	v_lshl_add_u32 v86, v86, 4, 0
	v_and_b32_e32 v83, 0x3f0, v83
	v_and_b32_e32 v85, 0x3f0, v85
	;; [unrolled: 1-line block ×3, first 2 shown]
	s_mov_b32 s4, 0x667f3bcd
	s_mov_b32 s5, 0x3fe6a09e
	v_add_nc_u32_e32 v91, s0, v83
	v_add_nc_u32_e32 v151, s0, v85
	s_waitcnt vmcnt(6) lgkmcnt(7)
	v_mul_f64 v[67:68], v[31:32], v[3:4]
	s_waitcnt vmcnt(5) lgkmcnt(6)
	v_mul_f64 v[69:70], v[35:36], v[7:8]
	;; [unrolled: 2-line block ×7, first 2 shown]
	v_mul_f64 v[27:28], v[53:54], v[27:28]
	v_mul_f64 v[11:12], v[39:40], v[11:12]
	;; [unrolled: 1-line block ×7, first 2 shown]
	v_fma_f64 v[67:68], v[29:30], v[1:2], v[67:68]
	v_fma_f64 v[29:30], v[33:34], v[5:6], v[69:70]
	v_fma_f64 v[69:70], v[39:40], v[9:10], -v[71:72]
	v_fma_f64 v[33:34], v[43:44], v[13:14], -v[73:74]
	v_fma_f64 v[39:40], v[53:54], v[25:26], v[75:76]
	v_fma_f64 v[47:48], v[47:48], v[17:18], -v[77:78]
	v_fma_f64 v[43:44], v[51:52], v[21:22], -v[79:80]
	;; [unrolled: 1-line block ×3, first 2 shown]
	v_fma_f64 v[51:52], v[37:38], v[9:10], v[11:12]
	v_fma_f64 v[13:14], v[41:42], v[13:14], v[15:16]
	;; [unrolled: 1-line block ×4, first 2 shown]
	v_fma_f64 v[49:50], v[31:32], v[1:2], -v[3:4]
	v_fma_f64 v[23:24], v[35:36], v[5:6], -v[7:8]
	v_add_nc_u32_e32 v5, v81, v61
	v_lshrrev_b32_e32 v4, 2, v81
	v_lshrrev_b32_e32 v2, 8, v81
	v_and_b32_e32 v1, 0x3f0, v87
	v_and_b32_e32 v3, 63, v81
	v_add_nc_u32_e32 v28, v5, v61
	v_lshrrev_b32_e32 v20, 2, v5
	v_add_nc_u32_e32 v6, s0, v82
	v_lshrrev_b32_e32 v18, 8, v5
	v_and_b32_e32 v19, 63, v5
	v_lshrrev_b32_e32 v41, 2, v28
	v_and_b32_e32 v36, 0x3f0, v20
	;; [unrolled: 2-line block ×3, first 2 shown]
	v_and_b32_e32 v17, 0x3f0, v4
	v_and_b32_e32 v15, 0x3f0, v2
	v_add_nc_u32_e32 v27, s0, v1
	v_lshl_add_u32 v16, v3, 4, 0
	ds_load_b128 v[1:4], v84 offset:26624
	ds_load_b128 v[5:8], v6 offset:1024
	;; [unrolled: 1-line block ×3, first 2 shown]
	v_and_b32_e32 v35, 0x3f0, v18
	v_lshl_add_u32 v32, v19, 4, 0
	v_and_b32_e32 v37, 0x3f0, v37
	v_lshl_add_u32 v38, v38, 4, 0
	v_add_nc_u32_e32 v17, s0, v17
	v_add_nc_u32_e32 v31, s0, v15
	v_add_f64 v[99:100], v[67:68], -v[29:30]
	v_add_nc_u32_e32 v75, s0, v35
	v_add_f64 v[53:54], v[69:70], -v[33:34]
	s_waitcnt lgkmcnt(3)
	v_add_f64 v[101:102], v[63:64], -v[39:40]
	v_and_b32_e32 v39, 0x3f0, v41
	v_add_f64 v[55:56], v[47:48], -v[43:44]
	v_add_f64 v[103:104], v[65:66], -v[25:26]
	v_add_nc_u32_e32 v25, v28, v61
	v_add_f64 v[71:72], v[51:52], -v[13:14]
	v_add_nc_u32_e32 v33, s0, v36
	v_add_f64 v[73:74], v[45:46], -v[21:22]
	v_add_nc_u32_e32 v44, s0, v39
	v_add_f64 v[105:106], v[49:50], -v[23:24]
	v_add_nc_u32_e32 v43, v25, v61
	v_lshrrev_b32_e32 v42, 2, v25
	v_and_b32_e32 v41, 63, v25
	v_lshrrev_b32_e32 v40, 8, v25
	ds_load_b128 v[13:16], v16 offset:26624
	ds_load_b128 v[17:20], v17 offset:1024
	v_add_nc_u32_e32 v61, v43, v61
	v_lshrrev_b32_e32 v80, 2, v43
	v_and_b32_e32 v77, 0x3f0, v42
	v_and_b32_e32 v78, 63, v43
	v_lshl_add_u32 v76, v41, 4, 0
	v_lshrrev_b32_e32 v82, 2, v61
	v_and_b32_e32 v80, 0x3f0, v80
	v_and_b32_e32 v84, 63, v61
	v_add_nc_u32_e32 v77, s0, v77
	ds_load_b128 v[21:24], v32 offset:26624
	ds_load_b128 v[25:28], v27 offset:1024
	;; [unrolled: 1-line block ×3, first 2 shown]
	v_and_b32_e32 v82, 0x3f0, v82
	ds_load_b128 v[33:36], v33 offset:1024
	v_lshrrev_b32_e32 v79, 8, v43
	v_add_nc_u32_e32 v81, s0, v37
	v_and_b32_e32 v83, 0x3f0, v40
	ds_load_b128 v[37:40], v38 offset:26624
	ds_load_b128 v[41:44], v44 offset:1024
	s_waitcnt lgkmcnt(9)
	v_mul_f64 v[131:132], v[3:4], v[7:8]
	v_lshrrev_b32_e32 v61, 8, v61
	v_mul_f64 v[7:8], v[1:2], v[7:8]
	s_waitcnt lgkmcnt(6)
	v_mul_f64 v[135:136], v[15:16], v[19:20]
	v_fma_f64 v[115:116], v[67:68], 2.0, -v[99:100]
	v_lshl_add_u32 v67, v84, 4, 0
	v_add_f64 v[107:108], v[99:100], v[53:54]
	v_fma_f64 v[119:120], v[63:64], 2.0, -v[101:102]
	v_fma_f64 v[125:126], v[69:70], 2.0, -v[53:54]
	v_add_f64 v[109:110], v[101:102], v[55:56]
	v_fma_f64 v[111:112], v[65:66], 2.0, -v[103:104]
	v_fma_f64 v[113:114], v[47:48], 2.0, -v[55:56]
	;; [unrolled: 1-line block ×3, first 2 shown]
	v_lshl_add_u32 v53, v78, 4, 0
	v_fma_f64 v[121:122], v[45:46], 2.0, -v[73:74]
	v_add_f64 v[127:128], v[103:104], -v[73:74]
	v_fma_f64 v[123:124], v[49:50], 2.0, -v[105:106]
	v_add_f64 v[129:130], v[105:106], -v[71:72]
	v_add_nc_u32_e32 v63, s0, v80
	v_add_nc_u32_e32 v71, s0, v82
	ds_load_b128 v[45:48], v76 offset:26624
	ds_load_b128 v[49:52], v77 offset:1024
	;; [unrolled: 1-line block ×6, first 2 shown]
	s_waitcnt lgkmcnt(10)
	v_mul_f64 v[133:134], v[11:12], v[27:28]
	s_waitcnt lgkmcnt(8)
	v_mul_f64 v[137:138], v[23:24], v[35:36]
	;; [unrolled: 2-line block ×3, first 2 shown]
	v_and_b32_e32 v84, 0x3f0, v79
	v_and_b32_e32 v61, 0x3f0, v61
	v_add_nc_u32_e32 v83, s0, v83
	ds_load_b128 v[75:78], v75 offset:2048
	ds_load_b128 v[79:82], v81 offset:2048
	v_add_nc_u32_e32 v87, s0, v84
	v_add_nc_u32_e32 v61, s0, v61
	ds_load_b128 v[83:86], v83 offset:2048
	s_mov_b32 s0, s4
	v_mul_f64 v[27:28], v[9:10], v[27:28]
	ds_load_b128 v[87:90], v87 offset:2048
	ds_load_b128 v[91:94], v91 offset:2048
	;; [unrolled: 1-line block ×3, first 2 shown]
	v_mul_hi_u32 v61, 0x13b13b2, v0
	v_mul_f64 v[19:20], v[13:14], v[19:20]
	s_waitcnt lgkmcnt(8)
	v_mul_f64 v[143:144], v[55:56], v[65:66]
	v_mul_f64 v[141:142], v[47:48], v[51:52]
	s_waitcnt lgkmcnt(6)
	v_mul_f64 v[145:146], v[69:70], v[73:74]
	v_mul_f64 v[35:36], v[21:22], v[35:36]
	;; [unrolled: 1-line block ×3, first 2 shown]
	v_fma_f64 v[147:148], v[99:100], 2.0, -v[107:108]
	v_mul_f64 v[51:52], v[45:46], v[51:52]
	v_fma_f64 v[0:1], v[1:2], v[5:6], -v[131:132]
	v_fma_f64 v[149:150], v[101:102], 2.0, -v[109:110]
	ds_load_b128 v[99:102], v151 offset:2048
	v_add_f64 v[113:114], v[111:112], -v[113:114]
	v_add_f64 v[117:118], v[115:116], -v[117:118]
	v_add_co_u32 v151, vcc_lo, s2, v59
	v_add_f64 v[121:122], v[119:120], -v[121:122]
	v_add_f64 v[125:126], v[123:124], -v[125:126]
	v_fma_f64 v[103:104], v[103:104], 2.0, -v[127:128]
	v_fma_f64 v[105:106], v[105:106], 2.0, -v[129:130]
	v_add_co_ci_u32_e32 v152, vcc_lo, s3, v60, vcc_lo
	v_mul_f64 v[59:60], v[53:54], v[65:66]
	v_mul_f64 v[65:66], v[67:68], v[73:74]
	v_fma_f64 v[9:10], v[9:10], v[25:26], -v[133:134]
	v_fma_f64 v[13:14], v[13:14], v[17:18], -v[135:136]
	v_fma_f64 v[21:22], v[21:22], v[33:34], -v[137:138]
	v_fma_f64 v[37:38], v[37:38], v[41:42], -v[139:140]
	v_fma_f64 v[131:132], v[107:108], s[4:5], v[109:110]
	v_fma_f64 v[73:74], v[129:130], s[4:5], v[127:128]
	v_mad_u32_u24 v137, 0x68, v61, v62
	v_fma_f64 v[2:3], v[3:4], v[5:6], v[7:8]
	v_add_co_u32 v138, vcc_lo, v151, v57
	v_add_co_ci_u32_e32 v139, vcc_lo, v152, v58, vcc_lo
	v_fma_f64 v[4:5], v[11:12], v[25:26], v[27:28]
	v_mad_u64_u32 v[57:58], null, s12, v137, 0
	v_fma_f64 v[6:7], v[15:16], v[17:18], v[19:20]
	v_fma_f64 v[53:54], v[53:54], v[63:64], -v[143:144]
	v_fma_f64 v[45:46], v[45:46], v[49:50], -v[141:142]
	;; [unrolled: 1-line block ×3, first 2 shown]
	v_fma_f64 v[11:12], v[23:24], v[33:34], v[35:36]
	v_fma_f64 v[15:16], v[39:40], v[41:42], v[43:44]
	v_add_nc_u32_e32 v140, 13, v137
	v_fma_f64 v[17:18], v[47:48], v[49:50], v[51:52]
	s_waitcnt lgkmcnt(2)
	v_mul_f64 v[25:26], v[0:1], v[93:94]
	v_fma_f64 v[133:134], v[147:148], s[0:1], v[149:150]
	v_add_nc_u32_e32 v141, 26, v137
	v_fma_f64 v[111:112], v[111:112], 2.0, -v[113:114]
	v_fma_f64 v[115:116], v[115:116], 2.0, -v[117:118]
	v_add_nc_u32_e32 v142, 39, v137
	v_add_nc_u32_e32 v143, 52, v137
	v_fma_f64 v[119:120], v[119:120], 2.0, -v[121:122]
	v_fma_f64 v[123:124], v[123:124], 2.0, -v[125:126]
	v_mov_b32_e32 v8, v58
	v_fma_f64 v[135:136], v[105:106], s[0:1], v[103:104]
	v_add_nc_u32_e32 v144, 0x41, v137
	v_add_nc_u32_e32 v146, 0x5b, v137
	v_fma_f64 v[19:20], v[55:56], v[63:64], v[59:60]
	v_fma_f64 v[23:24], v[69:70], v[71:72], v[65:66]
	s_waitcnt lgkmcnt(0)
	v_mul_f64 v[27:28], v[9:10], v[101:102]
	v_mul_f64 v[33:34], v[13:14], v[31:32]
	;; [unrolled: 1-line block ×4, first 2 shown]
	v_fma_f64 v[51:52], v[129:130], s[4:5], v[131:132]
	v_add_f64 v[55:56], v[113:114], -v[117:118]
	v_add_f64 v[59:60], v[121:122], v[125:126]
	v_fma_f64 v[49:50], v[107:108], s[0:1], v[73:74]
	v_mul_f64 v[93:94], v[2:3], v[93:94]
	v_mad_u64_u32 v[71:72], null, s12, v140, 0
	v_mad_u64_u32 v[73:74], null, s12, v141, 0
	v_mul_f64 v[101:102], v[4:5], v[101:102]
	v_mad_u64_u32 v[107:108], null, s12, v143, 0
	v_mul_f64 v[43:44], v[53:54], v[89:90]
	v_mul_f64 v[41:42], v[45:46], v[85:86]
	;; [unrolled: 1-line block ×7, first 2 shown]
	v_fma_f64 v[2:3], v[91:92], v[2:3], v[25:26]
	v_fma_f64 v[61:62], v[105:106], s[4:5], v[133:134]
	v_mad_u64_u32 v[105:106], null, s12, v142, 0
	v_mov_b32_e32 v58, v74
	v_dual_mov_b32 v74, v108 :: v_dual_add_nc_u32 v145, 0x4e, v137
	v_add_f64 v[63:64], v[119:120], -v[115:116]
	v_add_f64 v[65:66], v[111:112], -v[123:124]
	v_mad_u64_u32 v[115:116], null, s12, v144, 0
	v_fma_f64 v[69:70], v[147:148], s[0:1], v[135:136]
	v_mad_u64_u32 v[123:124], null, s12, v146, 0
	v_mul_f64 v[89:90], v[19:20], v[89:90]
	v_mul_f64 v[97:98], v[23:24], v[97:98]
	v_fma_f64 v[4:5], v[99:100], v[4:5], v[27:28]
	v_fma_f64 v[6:7], v[29:30], v[6:7], v[33:34]
	;; [unrolled: 1-line block ×4, first 2 shown]
	v_fma_f64 v[33:34], v[109:110], 2.0, -v[51:52]
	v_fma_f64 v[35:36], v[121:122], 2.0, -v[59:60]
	v_fma_f64 v[25:26], v[127:128], 2.0, -v[49:50]
	v_fma_f64 v[91:92], v[91:92], v[0:1], -v[93:94]
	v_mad_u64_u32 v[117:118], null, s12, v145, 0
	v_mov_b32_e32 v108, v124
	v_fma_f64 v[0:1], v[99:100], v[9:10], -v[101:102]
	v_fma_f64 v[19:20], v[87:88], v[19:20], v[43:44]
	v_fma_f64 v[17:18], v[83:84], v[17:18], v[41:42]
	;; [unrolled: 1-line block ×3, first 2 shown]
	v_fma_f64 v[47:48], v[113:114], 2.0, -v[55:56]
	v_fma_f64 v[37:38], v[79:80], v[37:38], -v[81:82]
	v_fma_f64 v[45:46], v[83:84], v[45:46], -v[85:86]
	v_fma_f64 v[39:40], v[149:150], 2.0, -v[61:62]
	v_fma_f64 v[41:42], v[119:120], 2.0, -v[63:64]
	;; [unrolled: 1-line block ×4, first 2 shown]
	v_mad_u64_u32 v[103:104], null, s13, v137, v[8:9]
	v_mov_b32_e32 v8, v72
	v_mov_b32_e32 v72, v106
	v_fma_f64 v[53:54], v[87:88], v[53:54], -v[89:90]
	v_fma_f64 v[67:68], v[95:96], v[67:68], -v[97:98]
	v_mul_f64 v[99:100], v[69:70], v[11:12]
	v_mad_u64_u32 v[109:110], null, s13, v140, v[8:9]
	v_mad_u64_u32 v[110:111], null, s13, v141, v[58:59]
	;; [unrolled: 1-line block ×4, first 2 shown]
	v_fma_f64 v[8:9], v[29:30], v[13:14], -v[31:32]
	v_fma_f64 v[75:76], v[75:76], v[21:22], -v[77:78]
	v_mul_f64 v[13:14], v[51:52], v[4:5]
	v_mul_f64 v[4:5], v[49:50], v[4:5]
	;; [unrolled: 1-line block ×12, first 2 shown]
	v_mov_b32_e32 v104, v116
	v_mov_b32_e32 v106, v118
	v_mad_u64_u32 v[10:11], null, s13, v146, v[108:109]
	v_mul_f64 v[85:86], v[41:42], v[2:3]
	v_mul_f64 v[87:88], v[43:44], v[2:3]
	v_mad_u64_u32 v[2:3], null, s13, v144, v[104:105]
	v_mul_f64 v[89:90], v[27:28], v[23:24]
	v_mad_u64_u32 v[6:7], null, s13, v145, v[106:107]
	v_mov_b32_e32 v124, v10
	v_mov_b32_e32 v58, v103
	;; [unrolled: 1-line block ×7, first 2 shown]
	v_lshlrev_b64 v[57:58], 4, v[57:58]
	v_lshlrev_b64 v[71:72], 4, v[71:72]
	;; [unrolled: 1-line block ×3, first 2 shown]
	v_mov_b32_e32 v108, v112
	v_lshlrev_b64 v[101:102], 4, v[105:106]
	v_lshlrev_b64 v[105:106], 4, v[115:116]
	;; [unrolled: 1-line block ×3, first 2 shown]
	v_fma_f64 v[2:3], v[49:50], v[0:1], -v[13:14]
	v_fma_f64 v[0:1], v[51:52], v[0:1], v[4:5]
	v_fma_f64 v[4:5], v[59:60], v[8:9], v[29:30]
	v_fma_f64 v[10:11], v[69:70], v[75:76], -v[31:32]
	v_fma_f64 v[18:19], v[25:26], v[45:46], -v[79:80]
	;; [unrolled: 1-line block ×4, first 2 shown]
	v_fma_f64 v[20:21], v[35:36], v[53:54], v[93:94]
	v_fma_f64 v[16:17], v[33:34], v[45:46], v[95:96]
	v_fma_f64 v[14:15], v[65:66], v[37:38], -v[77:78]
	v_fma_f64 v[26:27], v[27:28], v[67:68], -v[83:84]
	v_fma_f64 v[12:13], v[63:64], v[37:38], v[97:98]
	v_fma_f64 v[8:9], v[61:62], v[75:76], v[99:100]
	v_add_co_u32 v32, vcc_lo, v138, v57
	v_add_co_ci_u32_e32 v33, vcc_lo, v139, v58, vcc_lo
	v_fma_f64 v[30:31], v[43:44], v[91:92], -v[85:86]
	v_fma_f64 v[28:29], v[41:42], v[91:92], v[87:88]
	v_add_co_u32 v34, vcc_lo, v138, v71
	v_fma_f64 v[24:25], v[39:40], v[67:68], v[89:90]
	v_add_co_ci_u32_e32 v35, vcc_lo, v139, v72, vcc_lo
	v_lshlrev_b64 v[103:104], 4, v[107:108]
	v_add_co_u32 v36, vcc_lo, v138, v73
	v_add_co_ci_u32_e32 v37, vcc_lo, v139, v74, vcc_lo
	v_add_co_u32 v38, vcc_lo, v138, v101
	v_add_co_ci_u32_e32 v39, vcc_lo, v139, v102, vcc_lo
	v_lshlrev_b64 v[107:108], 4, v[117:118]
	v_add_co_u32 v40, vcc_lo, v138, v103
	v_add_co_ci_u32_e32 v41, vcc_lo, v139, v104, vcc_lo
	v_add_co_u32 v42, vcc_lo, v138, v105
	v_add_co_ci_u32_e32 v43, vcc_lo, v139, v106, vcc_lo
	;; [unrolled: 2-line block ×4, first 2 shown]
	s_clause 0x7
	global_store_b128 v[32:33], v[28:31], off
	global_store_b128 v[34:35], v[24:27], off
	;; [unrolled: 1-line block ×8, first 2 shown]
.LBB0_43:
	s_nop 0
	s_sendmsg sendmsg(MSG_DEALLOC_VGPRS)
	s_endpgm
	.section	.rodata,"a",@progbits
	.p2align	6, 0x0
	.amdhsa_kernel fft_rtc_back_len104_factors_13_8_wgs_208_tpt_13_dp_ip_CI_sbcc_twdbase6_3step_dirReg_intrinsicRead
		.amdhsa_group_segment_fixed_size 0
		.amdhsa_private_segment_fixed_size 0
		.amdhsa_kernarg_size 96
		.amdhsa_user_sgpr_count 15
		.amdhsa_user_sgpr_dispatch_ptr 0
		.amdhsa_user_sgpr_queue_ptr 0
		.amdhsa_user_sgpr_kernarg_segment_ptr 1
		.amdhsa_user_sgpr_dispatch_id 0
		.amdhsa_user_sgpr_private_segment_size 0
		.amdhsa_wavefront_size32 1
		.amdhsa_uses_dynamic_stack 0
		.amdhsa_enable_private_segment 0
		.amdhsa_system_sgpr_workgroup_id_x 1
		.amdhsa_system_sgpr_workgroup_id_y 0
		.amdhsa_system_sgpr_workgroup_id_z 0
		.amdhsa_system_sgpr_workgroup_info 0
		.amdhsa_system_vgpr_workitem_id 0
		.amdhsa_next_free_vgpr 218
		.amdhsa_next_free_sgpr 45
		.amdhsa_reserve_vcc 1
		.amdhsa_float_round_mode_32 0
		.amdhsa_float_round_mode_16_64 0
		.amdhsa_float_denorm_mode_32 3
		.amdhsa_float_denorm_mode_16_64 3
		.amdhsa_dx10_clamp 1
		.amdhsa_ieee_mode 1
		.amdhsa_fp16_overflow 0
		.amdhsa_workgroup_processor_mode 1
		.amdhsa_memory_ordered 1
		.amdhsa_forward_progress 0
		.amdhsa_shared_vgpr_count 0
		.amdhsa_exception_fp_ieee_invalid_op 0
		.amdhsa_exception_fp_denorm_src 0
		.amdhsa_exception_fp_ieee_div_zero 0
		.amdhsa_exception_fp_ieee_overflow 0
		.amdhsa_exception_fp_ieee_underflow 0
		.amdhsa_exception_fp_ieee_inexact 0
		.amdhsa_exception_int_div_zero 0
	.end_amdhsa_kernel
	.text
.Lfunc_end0:
	.size	fft_rtc_back_len104_factors_13_8_wgs_208_tpt_13_dp_ip_CI_sbcc_twdbase6_3step_dirReg_intrinsicRead, .Lfunc_end0-fft_rtc_back_len104_factors_13_8_wgs_208_tpt_13_dp_ip_CI_sbcc_twdbase6_3step_dirReg_intrinsicRead
                                        ; -- End function
	.section	.AMDGPU.csdata,"",@progbits
; Kernel info:
; codeLenInByte = 9400
; NumSgprs: 47
; NumVgprs: 218
; ScratchSize: 0
; MemoryBound: 0
; FloatMode: 240
; IeeeMode: 1
; LDSByteSize: 0 bytes/workgroup (compile time only)
; SGPRBlocks: 5
; VGPRBlocks: 27
; NumSGPRsForWavesPerEU: 47
; NumVGPRsForWavesPerEU: 218
; Occupancy: 6
; WaveLimiterHint : 1
; COMPUTE_PGM_RSRC2:SCRATCH_EN: 0
; COMPUTE_PGM_RSRC2:USER_SGPR: 15
; COMPUTE_PGM_RSRC2:TRAP_HANDLER: 0
; COMPUTE_PGM_RSRC2:TGID_X_EN: 1
; COMPUTE_PGM_RSRC2:TGID_Y_EN: 0
; COMPUTE_PGM_RSRC2:TGID_Z_EN: 0
; COMPUTE_PGM_RSRC2:TIDIG_COMP_CNT: 0
	.text
	.p2alignl 7, 3214868480
	.fill 96, 4, 3214868480
	.type	__hip_cuid_59e173625550f85f,@object ; @__hip_cuid_59e173625550f85f
	.section	.bss,"aw",@nobits
	.globl	__hip_cuid_59e173625550f85f
__hip_cuid_59e173625550f85f:
	.byte	0                               ; 0x0
	.size	__hip_cuid_59e173625550f85f, 1

	.ident	"AMD clang version 19.0.0git (https://github.com/RadeonOpenCompute/llvm-project roc-6.4.0 25133 c7fe45cf4b819c5991fe208aaa96edf142730f1d)"
	.section	".note.GNU-stack","",@progbits
	.addrsig
	.addrsig_sym __hip_cuid_59e173625550f85f
	.amdgpu_metadata
---
amdhsa.kernels:
  - .args:
      - .actual_access:  read_only
        .address_space:  global
        .offset:         0
        .size:           8
        .value_kind:     global_buffer
      - .address_space:  global
        .offset:         8
        .size:           8
        .value_kind:     global_buffer
      - .offset:         16
        .size:           8
        .value_kind:     by_value
      - .actual_access:  read_only
        .address_space:  global
        .offset:         24
        .size:           8
        .value_kind:     global_buffer
      - .actual_access:  read_only
        .address_space:  global
        .offset:         32
        .size:           8
        .value_kind:     global_buffer
      - .offset:         40
        .size:           8
        .value_kind:     by_value
      - .actual_access:  read_only
        .address_space:  global
        .offset:         48
        .size:           8
        .value_kind:     global_buffer
      - .actual_access:  read_only
        .address_space:  global
        .offset:         56
        .size:           8
        .value_kind:     global_buffer
      - .offset:         64
        .size:           4
        .value_kind:     by_value
      - .actual_access:  read_only
        .address_space:  global
        .offset:         72
        .size:           8
        .value_kind:     global_buffer
      - .actual_access:  read_only
        .address_space:  global
        .offset:         80
        .size:           8
        .value_kind:     global_buffer
      - .address_space:  global
        .offset:         88
        .size:           8
        .value_kind:     global_buffer
    .group_segment_fixed_size: 0
    .kernarg_segment_align: 8
    .kernarg_segment_size: 96
    .language:       OpenCL C
    .language_version:
      - 2
      - 0
    .max_flat_workgroup_size: 208
    .name:           fft_rtc_back_len104_factors_13_8_wgs_208_tpt_13_dp_ip_CI_sbcc_twdbase6_3step_dirReg_intrinsicRead
    .private_segment_fixed_size: 0
    .sgpr_count:     47
    .sgpr_spill_count: 0
    .symbol:         fft_rtc_back_len104_factors_13_8_wgs_208_tpt_13_dp_ip_CI_sbcc_twdbase6_3step_dirReg_intrinsicRead.kd
    .uniform_work_group_size: 1
    .uses_dynamic_stack: false
    .vgpr_count:     218
    .vgpr_spill_count: 0
    .wavefront_size: 32
    .workgroup_processor_mode: 1
amdhsa.target:   amdgcn-amd-amdhsa--gfx1100
amdhsa.version:
  - 1
  - 2
...

	.end_amdgpu_metadata
